;; amdgpu-corpus repo=ROCm/rocFFT kind=compiled arch=gfx1201 opt=O3
	.text
	.amdgcn_target "amdgcn-amd-amdhsa--gfx1201"
	.amdhsa_code_object_version 6
	.protected	fft_rtc_back_len315_factors_7_3_3_5_wgs_63_tpt_63_dp_op_CI_CI_unitstride_sbrr_dirReg ; -- Begin function fft_rtc_back_len315_factors_7_3_3_5_wgs_63_tpt_63_dp_op_CI_CI_unitstride_sbrr_dirReg
	.globl	fft_rtc_back_len315_factors_7_3_3_5_wgs_63_tpt_63_dp_op_CI_CI_unitstride_sbrr_dirReg
	.p2align	8
	.type	fft_rtc_back_len315_factors_7_3_3_5_wgs_63_tpt_63_dp_op_CI_CI_unitstride_sbrr_dirReg,@function
fft_rtc_back_len315_factors_7_3_3_5_wgs_63_tpt_63_dp_op_CI_CI_unitstride_sbrr_dirReg: ; @fft_rtc_back_len315_factors_7_3_3_5_wgs_63_tpt_63_dp_op_CI_CI_unitstride_sbrr_dirReg
; %bb.0:
	s_clause 0x2
	s_load_b128 s[8:11], s[0:1], 0x0
	s_load_b128 s[4:7], s[0:1], 0x58
	;; [unrolled: 1-line block ×3, first 2 shown]
	v_mul_u32_u24_e32 v1, 0x411, v0
	v_mov_b32_e32 v3, 0
	s_delay_alu instid0(VALU_DEP_2) | instskip(NEXT) | instid1(VALU_DEP_1)
	v_lshrrev_b32_e32 v1, 16, v1
	v_add_nc_u32_e32 v5, ttmp9, v1
	v_mov_b32_e32 v1, 0
	v_mov_b32_e32 v2, 0
	;; [unrolled: 1-line block ×3, first 2 shown]
	s_wait_kmcnt 0x0
	v_cmp_lt_u64_e64 s2, s[10:11], 2
	s_delay_alu instid0(VALU_DEP_1)
	s_and_b32 vcc_lo, exec_lo, s2
	s_cbranch_vccnz .LBB0_8
; %bb.1:
	s_load_b64 s[2:3], s[0:1], 0x10
	v_mov_b32_e32 v1, 0
	v_mov_b32_e32 v2, 0
	s_add_nc_u64 s[16:17], s[14:15], 8
	s_add_nc_u64 s[18:19], s[12:13], 8
	s_mov_b64 s[20:21], 1
	s_delay_alu instid0(VALU_DEP_1)
	v_dual_mov_b32 v25, v2 :: v_dual_mov_b32 v24, v1
	s_wait_kmcnt 0x0
	s_add_nc_u64 s[22:23], s[2:3], 8
	s_mov_b32 s3, 0
.LBB0_2:                                ; =>This Inner Loop Header: Depth=1
	s_load_b64 s[24:25], s[22:23], 0x0
                                        ; implicit-def: $vgpr26_vgpr27
	s_mov_b32 s2, exec_lo
	s_wait_kmcnt 0x0
	v_or_b32_e32 v4, s25, v6
	s_delay_alu instid0(VALU_DEP_1)
	v_cmpx_ne_u64_e32 0, v[3:4]
	s_wait_alu 0xfffe
	s_xor_b32 s26, exec_lo, s2
	s_cbranch_execz .LBB0_4
; %bb.3:                                ;   in Loop: Header=BB0_2 Depth=1
	s_cvt_f32_u32 s2, s24
	s_cvt_f32_u32 s27, s25
	s_sub_nc_u64 s[30:31], 0, s[24:25]
	s_wait_alu 0xfffe
	s_delay_alu instid0(SALU_CYCLE_1) | instskip(SKIP_1) | instid1(SALU_CYCLE_2)
	s_fmamk_f32 s2, s27, 0x4f800000, s2
	s_wait_alu 0xfffe
	v_s_rcp_f32 s2, s2
	s_delay_alu instid0(TRANS32_DEP_1) | instskip(SKIP_1) | instid1(SALU_CYCLE_2)
	s_mul_f32 s2, s2, 0x5f7ffffc
	s_wait_alu 0xfffe
	s_mul_f32 s27, s2, 0x2f800000
	s_wait_alu 0xfffe
	s_delay_alu instid0(SALU_CYCLE_2) | instskip(SKIP_1) | instid1(SALU_CYCLE_2)
	s_trunc_f32 s27, s27
	s_wait_alu 0xfffe
	s_fmamk_f32 s2, s27, 0xcf800000, s2
	s_cvt_u32_f32 s29, s27
	s_wait_alu 0xfffe
	s_delay_alu instid0(SALU_CYCLE_1) | instskip(SKIP_1) | instid1(SALU_CYCLE_2)
	s_cvt_u32_f32 s28, s2
	s_wait_alu 0xfffe
	s_mul_u64 s[34:35], s[30:31], s[28:29]
	s_wait_alu 0xfffe
	s_mul_hi_u32 s37, s28, s35
	s_mul_i32 s36, s28, s35
	s_mul_hi_u32 s2, s28, s34
	s_mul_i32 s33, s29, s34
	s_wait_alu 0xfffe
	s_add_nc_u64 s[36:37], s[2:3], s[36:37]
	s_mul_hi_u32 s27, s29, s34
	s_mul_hi_u32 s38, s29, s35
	s_add_co_u32 s2, s36, s33
	s_wait_alu 0xfffe
	s_add_co_ci_u32 s2, s37, s27
	s_mul_i32 s34, s29, s35
	s_add_co_ci_u32 s35, s38, 0
	s_wait_alu 0xfffe
	s_add_nc_u64 s[34:35], s[2:3], s[34:35]
	s_wait_alu 0xfffe
	v_add_co_u32 v4, s2, s28, s34
	s_delay_alu instid0(VALU_DEP_1) | instskip(SKIP_1) | instid1(VALU_DEP_1)
	s_cmp_lg_u32 s2, 0
	s_add_co_ci_u32 s29, s29, s35
	v_readfirstlane_b32 s28, v4
	s_wait_alu 0xfffe
	s_delay_alu instid0(VALU_DEP_1)
	s_mul_u64 s[30:31], s[30:31], s[28:29]
	s_wait_alu 0xfffe
	s_mul_hi_u32 s35, s28, s31
	s_mul_i32 s34, s28, s31
	s_mul_hi_u32 s2, s28, s30
	s_mul_i32 s33, s29, s30
	s_wait_alu 0xfffe
	s_add_nc_u64 s[34:35], s[2:3], s[34:35]
	s_mul_hi_u32 s27, s29, s30
	s_mul_hi_u32 s28, s29, s31
	s_wait_alu 0xfffe
	s_add_co_u32 s2, s34, s33
	s_add_co_ci_u32 s2, s35, s27
	s_mul_i32 s30, s29, s31
	s_add_co_ci_u32 s31, s28, 0
	s_wait_alu 0xfffe
	s_add_nc_u64 s[30:31], s[2:3], s[30:31]
	s_wait_alu 0xfffe
	v_add_co_u32 v4, s2, v4, s30
	s_delay_alu instid0(VALU_DEP_1) | instskip(SKIP_1) | instid1(VALU_DEP_1)
	s_cmp_lg_u32 s2, 0
	s_add_co_ci_u32 s2, s29, s31
	v_mul_hi_u32 v13, v5, v4
	s_wait_alu 0xfffe
	v_mad_co_u64_u32 v[7:8], null, v5, s2, 0
	v_mad_co_u64_u32 v[9:10], null, v6, v4, 0
	;; [unrolled: 1-line block ×3, first 2 shown]
	s_delay_alu instid0(VALU_DEP_3) | instskip(SKIP_1) | instid1(VALU_DEP_4)
	v_add_co_u32 v4, vcc_lo, v13, v7
	s_wait_alu 0xfffd
	v_add_co_ci_u32_e32 v7, vcc_lo, 0, v8, vcc_lo
	s_delay_alu instid0(VALU_DEP_2) | instskip(SKIP_1) | instid1(VALU_DEP_2)
	v_add_co_u32 v4, vcc_lo, v4, v9
	s_wait_alu 0xfffd
	v_add_co_ci_u32_e32 v4, vcc_lo, v7, v10, vcc_lo
	s_wait_alu 0xfffd
	v_add_co_ci_u32_e32 v7, vcc_lo, 0, v12, vcc_lo
	s_delay_alu instid0(VALU_DEP_2) | instskip(SKIP_1) | instid1(VALU_DEP_2)
	v_add_co_u32 v4, vcc_lo, v4, v11
	s_wait_alu 0xfffd
	v_add_co_ci_u32_e32 v9, vcc_lo, 0, v7, vcc_lo
	s_delay_alu instid0(VALU_DEP_2) | instskip(SKIP_1) | instid1(VALU_DEP_3)
	v_mul_lo_u32 v10, s25, v4
	v_mad_co_u64_u32 v[7:8], null, s24, v4, 0
	v_mul_lo_u32 v11, s24, v9
	s_delay_alu instid0(VALU_DEP_2) | instskip(NEXT) | instid1(VALU_DEP_2)
	v_sub_co_u32 v7, vcc_lo, v5, v7
	v_add3_u32 v8, v8, v11, v10
	s_delay_alu instid0(VALU_DEP_1) | instskip(SKIP_1) | instid1(VALU_DEP_1)
	v_sub_nc_u32_e32 v10, v6, v8
	s_wait_alu 0xfffd
	v_subrev_co_ci_u32_e64 v10, s2, s25, v10, vcc_lo
	v_add_co_u32 v11, s2, v4, 2
	s_wait_alu 0xf1ff
	v_add_co_ci_u32_e64 v12, s2, 0, v9, s2
	v_sub_co_u32 v13, s2, v7, s24
	v_sub_co_ci_u32_e32 v8, vcc_lo, v6, v8, vcc_lo
	s_wait_alu 0xf1ff
	v_subrev_co_ci_u32_e64 v10, s2, 0, v10, s2
	s_delay_alu instid0(VALU_DEP_3) | instskip(NEXT) | instid1(VALU_DEP_3)
	v_cmp_le_u32_e32 vcc_lo, s24, v13
	v_cmp_eq_u32_e64 s2, s25, v8
	s_wait_alu 0xfffd
	v_cndmask_b32_e64 v13, 0, -1, vcc_lo
	v_cmp_le_u32_e32 vcc_lo, s25, v10
	s_wait_alu 0xfffd
	v_cndmask_b32_e64 v14, 0, -1, vcc_lo
	v_cmp_le_u32_e32 vcc_lo, s24, v7
	;; [unrolled: 3-line block ×3, first 2 shown]
	s_wait_alu 0xfffd
	v_cndmask_b32_e64 v15, 0, -1, vcc_lo
	v_cmp_eq_u32_e32 vcc_lo, s25, v10
	s_wait_alu 0xf1ff
	s_delay_alu instid0(VALU_DEP_2)
	v_cndmask_b32_e64 v7, v15, v7, s2
	s_wait_alu 0xfffd
	v_cndmask_b32_e32 v10, v14, v13, vcc_lo
	v_add_co_u32 v13, vcc_lo, v4, 1
	s_wait_alu 0xfffd
	v_add_co_ci_u32_e32 v14, vcc_lo, 0, v9, vcc_lo
	s_delay_alu instid0(VALU_DEP_3) | instskip(SKIP_1) | instid1(VALU_DEP_2)
	v_cmp_ne_u32_e32 vcc_lo, 0, v10
	s_wait_alu 0xfffd
	v_cndmask_b32_e32 v8, v14, v12, vcc_lo
	v_cndmask_b32_e32 v10, v13, v11, vcc_lo
	v_cmp_ne_u32_e32 vcc_lo, 0, v7
	s_wait_alu 0xfffd
	s_delay_alu instid0(VALU_DEP_2)
	v_dual_cndmask_b32 v27, v9, v8 :: v_dual_cndmask_b32 v26, v4, v10
.LBB0_4:                                ;   in Loop: Header=BB0_2 Depth=1
	s_wait_alu 0xfffe
	s_and_not1_saveexec_b32 s2, s26
	s_cbranch_execz .LBB0_6
; %bb.5:                                ;   in Loop: Header=BB0_2 Depth=1
	v_cvt_f32_u32_e32 v4, s24
	s_sub_co_i32 s26, 0, s24
	v_mov_b32_e32 v27, v3
	s_delay_alu instid0(VALU_DEP_2) | instskip(NEXT) | instid1(TRANS32_DEP_1)
	v_rcp_iflag_f32_e32 v4, v4
	v_mul_f32_e32 v4, 0x4f7ffffe, v4
	s_delay_alu instid0(VALU_DEP_1) | instskip(SKIP_1) | instid1(VALU_DEP_1)
	v_cvt_u32_f32_e32 v4, v4
	s_wait_alu 0xfffe
	v_mul_lo_u32 v7, s26, v4
	s_delay_alu instid0(VALU_DEP_1) | instskip(NEXT) | instid1(VALU_DEP_1)
	v_mul_hi_u32 v7, v4, v7
	v_add_nc_u32_e32 v4, v4, v7
	s_delay_alu instid0(VALU_DEP_1) | instskip(NEXT) | instid1(VALU_DEP_1)
	v_mul_hi_u32 v4, v5, v4
	v_mul_lo_u32 v7, v4, s24
	v_add_nc_u32_e32 v8, 1, v4
	s_delay_alu instid0(VALU_DEP_2) | instskip(NEXT) | instid1(VALU_DEP_1)
	v_sub_nc_u32_e32 v7, v5, v7
	v_subrev_nc_u32_e32 v9, s24, v7
	v_cmp_le_u32_e32 vcc_lo, s24, v7
	s_wait_alu 0xfffd
	s_delay_alu instid0(VALU_DEP_2) | instskip(NEXT) | instid1(VALU_DEP_1)
	v_dual_cndmask_b32 v7, v7, v9 :: v_dual_cndmask_b32 v4, v4, v8
	v_cmp_le_u32_e32 vcc_lo, s24, v7
	s_delay_alu instid0(VALU_DEP_2) | instskip(SKIP_1) | instid1(VALU_DEP_1)
	v_add_nc_u32_e32 v8, 1, v4
	s_wait_alu 0xfffd
	v_cndmask_b32_e32 v26, v4, v8, vcc_lo
.LBB0_6:                                ;   in Loop: Header=BB0_2 Depth=1
	s_wait_alu 0xfffe
	s_or_b32 exec_lo, exec_lo, s2
	v_mul_lo_u32 v4, v27, s24
	s_delay_alu instid0(VALU_DEP_2)
	v_mul_lo_u32 v9, v26, s25
	s_load_b64 s[26:27], s[18:19], 0x0
	v_mad_co_u64_u32 v[7:8], null, v26, s24, 0
	s_load_b64 s[24:25], s[16:17], 0x0
	s_add_nc_u64 s[20:21], s[20:21], 1
	s_add_nc_u64 s[16:17], s[16:17], 8
	s_wait_alu 0xfffe
	v_cmp_ge_u64_e64 s2, s[20:21], s[10:11]
	s_add_nc_u64 s[18:19], s[18:19], 8
	s_add_nc_u64 s[22:23], s[22:23], 8
	v_add3_u32 v4, v8, v9, v4
	v_sub_co_u32 v5, vcc_lo, v5, v7
	s_wait_alu 0xfffd
	s_delay_alu instid0(VALU_DEP_2) | instskip(SKIP_2) | instid1(VALU_DEP_1)
	v_sub_co_ci_u32_e32 v4, vcc_lo, v6, v4, vcc_lo
	s_and_b32 vcc_lo, exec_lo, s2
	s_wait_kmcnt 0x0
	v_mul_lo_u32 v6, s26, v4
	v_mul_lo_u32 v7, s27, v5
	v_mad_co_u64_u32 v[1:2], null, s26, v5, v[1:2]
	v_mul_lo_u32 v4, s24, v4
	v_mul_lo_u32 v8, s25, v5
	v_mad_co_u64_u32 v[24:25], null, s24, v5, v[24:25]
	s_delay_alu instid0(VALU_DEP_4) | instskip(NEXT) | instid1(VALU_DEP_2)
	v_add3_u32 v2, v7, v2, v6
	v_add3_u32 v25, v8, v25, v4
	s_wait_alu 0xfffe
	s_cbranch_vccnz .LBB0_9
; %bb.7:                                ;   in Loop: Header=BB0_2 Depth=1
	v_dual_mov_b32 v5, v26 :: v_dual_mov_b32 v6, v27
	s_branch .LBB0_2
.LBB0_8:
	v_dual_mov_b32 v25, v2 :: v_dual_mov_b32 v24, v1
	v_dual_mov_b32 v27, v6 :: v_dual_mov_b32 v26, v5
.LBB0_9:
	s_load_b64 s[0:1], s[0:1], 0x28
	v_mul_hi_u32 v3, 0x4104105, v0
                                        ; implicit-def: $vgpr28
	s_wait_kmcnt 0x0
	s_delay_alu instid0(VALU_DEP_2) | instskip(SKIP_1) | instid1(VALU_DEP_1)
	v_cmp_gt_u64_e32 vcc_lo, s[0:1], v[26:27]
	v_cmp_le_u64_e64 s0, s[0:1], v[26:27]
	s_and_saveexec_b32 s1, s0
	s_wait_alu 0xfffe
	s_xor_b32 s0, exec_lo, s1
; %bb.10:
	s_delay_alu instid0(VALU_DEP_3) | instskip(NEXT) | instid1(VALU_DEP_1)
	v_mul_u32_u24_e32 v1, 63, v3
                                        ; implicit-def: $vgpr3
	v_sub_nc_u32_e32 v28, v0, v1
                                        ; implicit-def: $vgpr0
                                        ; implicit-def: $vgpr1_vgpr2
; %bb.11:
	s_wait_alu 0xfffe
	s_and_not1_saveexec_b32 s1, s0
	s_cbranch_execz .LBB0_13
; %bb.12:
	s_lshl_b64 s[2:3], s[10:11], 3
	v_lshlrev_b64_e32 v[1:2], 4, v[1:2]
	s_wait_alu 0xfffe
	s_add_nc_u64 s[2:3], s[12:13], s[2:3]
	s_load_b64 s[2:3], s[2:3], 0x0
	s_wait_kmcnt 0x0
	v_mul_lo_u32 v6, s3, v26
	v_mul_lo_u32 v7, s2, v27
	v_mad_co_u64_u32 v[4:5], null, s2, v26, 0
	s_delay_alu instid0(VALU_DEP_1) | instskip(SKIP_1) | instid1(VALU_DEP_2)
	v_add3_u32 v5, v5, v7, v6
	v_mul_u32_u24_e32 v6, 63, v3
	v_lshlrev_b64_e32 v[3:4], 4, v[4:5]
	s_delay_alu instid0(VALU_DEP_2) | instskip(NEXT) | instid1(VALU_DEP_1)
	v_sub_nc_u32_e32 v28, v0, v6
	v_lshlrev_b32_e32 v20, 4, v28
	s_delay_alu instid0(VALU_DEP_3) | instskip(SKIP_1) | instid1(VALU_DEP_4)
	v_add_co_u32 v0, s0, s4, v3
	s_wait_alu 0xf1ff
	v_add_co_ci_u32_e64 v3, s0, s5, v4, s0
	s_delay_alu instid0(VALU_DEP_2) | instskip(SKIP_1) | instid1(VALU_DEP_2)
	v_add_co_u32 v0, s0, v0, v1
	s_wait_alu 0xf1ff
	v_add_co_ci_u32_e64 v1, s0, v3, v2, s0
	s_delay_alu instid0(VALU_DEP_2) | instskip(SKIP_1) | instid1(VALU_DEP_2)
	v_add_co_u32 v16, s0, v0, v20
	s_wait_alu 0xf1ff
	v_add_co_ci_u32_e64 v17, s0, 0, v1, s0
	s_clause 0x4
	global_load_b128 v[0:3], v[16:17], off
	global_load_b128 v[4:7], v[16:17], off offset:1008
	global_load_b128 v[8:11], v[16:17], off offset:2016
	;; [unrolled: 1-line block ×4, first 2 shown]
	v_add_nc_u32_e32 v20, 0, v20
	s_wait_loadcnt 0x4
	ds_store_b128 v20, v[0:3]
	s_wait_loadcnt 0x3
	ds_store_b128 v20, v[4:7] offset:1008
	s_wait_loadcnt 0x2
	ds_store_b128 v20, v[8:11] offset:2016
	;; [unrolled: 2-line block ×4, first 2 shown]
.LBB0_13:
	s_wait_alu 0xfffe
	s_or_b32 exec_lo, exec_lo, s1
	v_lshl_add_u32 v53, v28, 4, 0
	global_wb scope:SCOPE_SE
	s_wait_dscnt 0x0
	s_barrier_signal -1
	s_barrier_wait -1
	global_inv scope:SCOPE_SE
	ds_load_b128 v[0:3], v53 offset:720
	ds_load_b128 v[4:7], v53 offset:4320
	;; [unrolled: 1-line block ×6, first 2 shown]
	s_mov_b32 s2, 0x36b3c0b5
	s_mov_b32 s3, 0x3fac98ee
	;; [unrolled: 1-line block ×8, first 2 shown]
	s_wait_dscnt 0x4
	v_add_f64_e32 v[29:30], v[0:1], v[4:5]
	v_add_f64_e32 v[31:32], v[2:3], v[6:7]
	s_wait_dscnt 0x2
	v_add_f64_e32 v[33:34], v[12:13], v[8:9]
	v_add_f64_e32 v[35:36], v[14:15], v[10:11]
	v_add_f64_e64 v[8:9], v[12:13], -v[8:9]
	v_add_f64_e64 v[4:5], v[0:1], -v[4:5]
	v_add_f64_e64 v[6:7], v[2:3], -v[6:7]
	ds_load_b128 v[0:3], v53
	s_wait_dscnt 0x1
	v_add_f64_e32 v[12:13], v[16:17], v[20:21]
	v_add_f64_e32 v[37:38], v[18:19], v[22:23]
	v_add_f64_e64 v[10:11], v[14:15], -v[10:11]
	v_add_f64_e64 v[14:15], v[20:21], -v[16:17]
	;; [unrolled: 1-line block ×3, first 2 shown]
	global_wb scope:SCOPE_SE
	s_wait_dscnt 0x0
	s_barrier_signal -1
	s_barrier_wait -1
	global_inv scope:SCOPE_SE
	v_add_f64_e32 v[16:17], v[33:34], v[29:30]
	v_add_f64_e32 v[20:21], v[35:36], v[31:32]
	v_add_f64_e64 v[56:57], v[33:34], -v[29:30]
	v_add_f64_e64 v[49:50], v[8:9], -v[4:5]
	;; [unrolled: 1-line block ×9, first 2 shown]
	v_add_f64_e32 v[8:9], v[14:15], v[8:9]
	v_add_f64_e32 v[10:11], v[18:19], v[10:11]
	v_add_f64_e64 v[29:30], v[4:5], -v[14:15]
	v_add_f64_e64 v[33:34], v[6:7], -v[18:19]
	v_add_f64_e32 v[45:46], v[12:13], v[16:17]
	v_add_f64_e32 v[47:48], v[37:38], v[20:21]
	v_add_f64_e64 v[37:38], v[31:32], -v[37:38]
	s_wait_alu 0xfffe
	v_mul_f64_e32 v[16:17], s[2:3], v[22:23]
	v_mul_f64_e32 v[20:21], s[2:3], v[39:40]
	s_mov_b32 s3, 0x3fe77f67
	v_mul_f64_e32 v[22:23], s[4:5], v[41:42]
	v_mul_f64_e32 v[18:19], s[4:5], v[43:44]
	;; [unrolled: 1-line block ×3, first 2 shown]
	s_mov_b32 s2, 0x5476071b
	s_mov_b32 s4, 0xb247c609
	;; [unrolled: 1-line block ×3, first 2 shown]
	v_add_f64_e32 v[41:42], v[8:9], v[4:5]
	v_add_f64_e32 v[43:44], v[10:11], v[6:7]
	;; [unrolled: 1-line block ×4, first 2 shown]
	v_mul_f64_e32 v[0:1], s[12:13], v[49:50]
	v_mul_f64_e32 v[2:3], s[12:13], v[51:52]
	;; [unrolled: 1-line block ×3, first 2 shown]
	s_mov_b32 s0, 0xaaaaaaaa
	s_mov_b32 s1, 0xbff2aaaa
	s_wait_alu 0xfffe
	v_fma_f64 v[4:5], v[56:57], s[2:3], -v[16:17]
	v_fma_f64 v[6:7], v[58:59], s[2:3], -v[20:21]
	s_mov_b32 s3, 0xbfe77f67
	v_fma_f64 v[8:9], v[49:50], s[12:13], -v[22:23]
	v_fma_f64 v[10:11], v[51:52], s[12:13], -v[18:19]
	s_mov_b32 s12, 0x37c3f68c
	s_mov_b32 s13, 0xbfdc38aa
	v_fma_f64 v[37:38], v[45:46], s[0:1], v[12:13]
	v_fma_f64 v[39:40], v[47:48], s[0:1], v[14:15]
	v_fma_f64 v[0:1], v[29:30], s[4:5], -v[0:1]
	v_fma_f64 v[2:3], v[33:34], s[4:5], -v[2:3]
	s_wait_alu 0xfffe
	v_fma_f64 v[47:48], v[56:57], s[2:3], -v[31:32]
	v_fma_f64 v[51:52], v[58:59], s[2:3], -v[35:36]
	s_lshl_b64 s[2:3], s[10:11], 3
	s_mov_b32 s1, exec_lo
	v_fma_f64 v[8:9], v[41:42], s[12:13], v[8:9]
	v_fma_f64 v[10:11], v[43:44], s[12:13], v[10:11]
	v_add_f64_e32 v[4:5], v[4:5], v[37:38]
	v_add_f64_e32 v[6:7], v[6:7], v[39:40]
	v_fma_f64 v[49:50], v[41:42], s[12:13], v[0:1]
	v_fma_f64 v[45:46], v[43:44], s[12:13], v[2:3]
	v_add_f64_e32 v[47:48], v[47:48], v[37:38]
	v_add_f64_e32 v[51:52], v[51:52], v[39:40]
	v_add_f64_e64 v[0:1], v[4:5], -v[10:11]
	v_add_f64_e32 v[2:3], v[8:9], v[6:7]
	v_add_f64_e32 v[4:5], v[4:5], v[10:11]
	v_add_f64_e64 v[6:7], v[6:7], -v[8:9]
	v_add_f64_e64 v[8:9], v[47:48], -v[45:46]
	v_add_f64_e32 v[10:11], v[49:50], v[51:52]
	v_cmpx_gt_u32_e32 45, v28
	s_cbranch_execz .LBB0_15
; %bb.14:
	s_mov_b32 s5, 0xbfd5d0dc
	v_mul_f64_e32 v[41:42], s[12:13], v[41:42]
	s_wait_alu 0xfffe
	v_mul_f64_e32 v[29:30], s[4:5], v[29:30]
	v_mul_f64_e32 v[33:34], s[4:5], v[33:34]
	;; [unrolled: 1-line block ×3, first 2 shown]
	v_add_f64_e32 v[20:21], v[20:21], v[35:36]
	v_add_f64_e32 v[16:17], v[16:17], v[31:32]
	;; [unrolled: 1-line block ×4, first 2 shown]
	s_delay_alu instid0(VALU_DEP_4) | instskip(NEXT) | instid1(VALU_DEP_4)
	v_add_f64_e32 v[20:21], v[20:21], v[39:40]
	v_add_f64_e32 v[33:34], v[16:17], v[37:38]
	v_add_f64_e32 v[16:17], v[47:48], v[45:46]
	v_add_f64_e32 v[29:30], v[41:42], v[22:23]
	v_add_f64_e32 v[35:36], v[43:44], v[18:19]
	v_add_f64_e64 v[18:19], v[51:52], -v[49:50]
	s_delay_alu instid0(VALU_DEP_3) | instskip(SKIP_1) | instid1(VALU_DEP_4)
	v_add_f64_e32 v[22:23], v[29:30], v[20:21]
	v_add_f64_e64 v[31:32], v[20:21], -v[29:30]
	v_add_f64_e32 v[29:30], v[33:34], v[35:36]
	v_add_f64_e64 v[20:21], v[33:34], -v[35:36]
	v_mad_u32_u24 v33, 0x60, v28, v53
	ds_store_b128 v33, v[4:7] offset:64
	ds_store_b128 v33, v[8:11] offset:80
	;; [unrolled: 1-line block ×4, first 2 shown]
	ds_store_b128 v33, v[12:15]
	ds_store_b128 v33, v[29:32] offset:16
	ds_store_b128 v33, v[20:23] offset:96
.LBB0_15:
	s_wait_alu 0xfffe
	s_or_b32 exec_lo, exec_lo, s1
	global_wb scope:SCOPE_SE
	s_wait_dscnt 0x0
	s_barrier_signal -1
	s_barrier_wait -1
	global_inv scope:SCOPE_SE
	ds_load_b128 v[12:15], v53
	ds_load_b128 v[16:19], v53 offset:1680
	ds_load_b128 v[20:23], v53 offset:3360
	v_cmp_gt_u32_e64 s0, 42, v28
	s_add_nc_u64 s[2:3], s[14:15], s[2:3]
	s_delay_alu instid0(VALU_DEP_1)
	s_and_saveexec_b32 s1, s0
	s_cbranch_execz .LBB0_17
; %bb.16:
	ds_load_b128 v[0:3], v53 offset:1008
	ds_load_b128 v[4:7], v53 offset:2688
	;; [unrolled: 1-line block ×3, first 2 shown]
.LBB0_17:
	s_wait_alu 0xfffe
	s_or_b32 exec_lo, exec_lo, s1
	v_add_nc_u16 v29, v28, 63
	v_and_b32_e32 v31, 0xff, v28
	s_mov_b32 s4, 0xe8584caa
	s_mov_b32 s5, 0xbfebb67a
	;; [unrolled: 1-line block ×3, first 2 shown]
	v_and_b32_e32 v30, 0xff, v29
	v_mul_lo_u16 v32, v31, 37
	s_wait_alu 0xfffe
	s_mov_b32 s10, s4
	s_delay_alu instid0(VALU_DEP_2) | instskip(NEXT) | instid1(VALU_DEP_2)
	v_mul_lo_u16 v33, v30, 37
	v_lshrrev_b16 v32, 8, v32
	s_delay_alu instid0(VALU_DEP_2) | instskip(NEXT) | instid1(VALU_DEP_2)
	v_lshrrev_b16 v33, 8, v33
	v_sub_nc_u16 v34, v28, v32
	s_delay_alu instid0(VALU_DEP_2) | instskip(NEXT) | instid1(VALU_DEP_2)
	v_sub_nc_u16 v35, v29, v33
	v_lshrrev_b16 v34, 1, v34
	s_delay_alu instid0(VALU_DEP_2) | instskip(NEXT) | instid1(VALU_DEP_2)
	v_lshrrev_b16 v35, 1, v35
	v_and_b32_e32 v34, 0x7f, v34
	s_delay_alu instid0(VALU_DEP_2) | instskip(NEXT) | instid1(VALU_DEP_2)
	v_and_b32_e32 v35, 0x7f, v35
	v_add_nc_u16 v32, v34, v32
	s_delay_alu instid0(VALU_DEP_2) | instskip(NEXT) | instid1(VALU_DEP_2)
	v_add_nc_u16 v33, v35, v33
	v_lshrrev_b16 v52, 2, v32
	s_delay_alu instid0(VALU_DEP_2) | instskip(NEXT) | instid1(VALU_DEP_2)
	v_lshrrev_b16 v32, 2, v33
	v_mul_lo_u16 v33, v52, 7
	s_delay_alu instid0(VALU_DEP_2) | instskip(NEXT) | instid1(VALU_DEP_2)
	v_mul_lo_u16 v34, v32, 7
	v_sub_nc_u16 v33, v28, v33
	s_delay_alu instid0(VALU_DEP_2) | instskip(NEXT) | instid1(VALU_DEP_2)
	v_sub_nc_u16 v34, v29, v34
	v_and_b32_e32 v60, 0xff, v33
	s_delay_alu instid0(VALU_DEP_2) | instskip(NEXT) | instid1(VALU_DEP_2)
	v_and_b32_e32 v33, 0xff, v34
	v_lshlrev_b32_e32 v38, 5, v60
	s_delay_alu instid0(VALU_DEP_2)
	v_lshlrev_b32_e32 v46, 5, v33
	s_clause 0x3
	global_load_b128 v[34:37], v38, s[8:9]
	global_load_b128 v[38:41], v38, s[8:9] offset:16
	global_load_b128 v[42:45], v46, s[8:9]
	global_load_b128 v[46:49], v46, s[8:9] offset:16
	s_load_b64 s[2:3], s[2:3], 0x0
	global_wb scope:SCOPE_SE
	s_wait_loadcnt_dscnt 0x0
	s_wait_kmcnt 0x0
	s_barrier_signal -1
	s_barrier_wait -1
	global_inv scope:SCOPE_SE
	v_mul_f64_e32 v[50:51], v[18:19], v[36:37]
	v_mul_f64_e32 v[54:55], v[22:23], v[40:41]
	;; [unrolled: 1-line block ×8, first 2 shown]
	v_fma_f64 v[16:17], v[16:17], v[34:35], v[50:51]
	v_fma_f64 v[20:21], v[20:21], v[38:39], v[54:55]
	;; [unrolled: 1-line block ×4, first 2 shown]
	v_fma_f64 v[6:7], v[6:7], v[42:43], -v[44:45]
	v_fma_f64 v[10:11], v[10:11], v[46:47], -v[48:49]
	v_fma_f64 v[18:19], v[18:19], v[34:35], -v[36:37]
	v_fma_f64 v[22:23], v[22:23], v[38:39], -v[40:41]
	v_add_f64_e32 v[42:43], v[12:13], v[16:17]
	v_add_f64_e32 v[34:35], v[16:17], v[20:21]
	;; [unrolled: 1-line block ×6, first 2 shown]
	v_add_f64_e64 v[6:7], v[6:7], -v[10:11]
	v_add_f64_e32 v[36:37], v[18:19], v[22:23]
	v_add_f64_e64 v[44:45], v[18:19], -v[22:23]
	v_add_f64_e32 v[18:19], v[14:15], v[18:19]
	v_add_f64_e64 v[54:55], v[4:5], -v[8:9]
	v_add_f64_e64 v[50:51], v[16:17], -v[20:21]
	v_fma_f64 v[34:35], v[34:35], -0.5, v[12:13]
	v_add_f64_e32 v[12:13], v[42:43], v[20:21]
	v_fma_f64 v[38:39], v[38:39], -0.5, v[0:1]
	v_add_f64_e32 v[0:1], v[46:47], v[8:9]
	;; [unrolled: 2-line block ×4, first 2 shown]
	v_fma_f64 v[16:17], v[44:45], s[4:5], v[34:35]
	v_fma_f64 v[20:21], v[44:45], s[10:11], v[34:35]
	;; [unrolled: 1-line block ×8, first 2 shown]
	v_and_b32_e32 v34, 0xffff, v52
	v_lshlrev_b32_e32 v35, 4, v60
	s_delay_alu instid0(VALU_DEP_2) | instskip(NEXT) | instid1(VALU_DEP_1)
	v_mul_u32_u24_e32 v34, 0x150, v34
	v_add3_u32 v34, 0, v34, v35
	ds_store_b128 v34, v[12:15]
	ds_store_b128 v34, v[16:19] offset:112
	ds_store_b128 v34, v[20:23] offset:224
	s_and_saveexec_b32 s1, s0
	s_cbranch_execz .LBB0_19
; %bb.18:
	v_and_b32_e32 v12, 0xffff, v32
	v_lshlrev_b32_e32 v13, 4, v33
	s_delay_alu instid0(VALU_DEP_2) | instskip(NEXT) | instid1(VALU_DEP_1)
	v_mul_u32_u24_e32 v12, 0x150, v12
	v_add3_u32 v12, 0, v12, v13
	ds_store_b128 v12, v[0:3]
	ds_store_b128 v12, v[4:7] offset:112
	ds_store_b128 v12, v[8:11] offset:224
.LBB0_19:
	s_wait_alu 0xfffe
	s_or_b32 exec_lo, exec_lo, s1
	global_wb scope:SCOPE_SE
	s_wait_dscnt 0x0
	s_barrier_signal -1
	s_barrier_wait -1
	global_inv scope:SCOPE_SE
	ds_load_b128 v[12:15], v53
	ds_load_b128 v[16:19], v53 offset:1680
	ds_load_b128 v[20:23], v53 offset:3360
	s_and_saveexec_b32 s1, s0
	s_cbranch_execz .LBB0_21
; %bb.20:
	ds_load_b128 v[0:3], v53 offset:1008
	ds_load_b128 v[4:7], v53 offset:2688
	;; [unrolled: 1-line block ×3, first 2 shown]
.LBB0_21:
	s_wait_alu 0xfffe
	s_or_b32 exec_lo, exec_lo, s1
	v_mul_lo_u16 v31, 0x87, v31
	s_mov_b32 s10, s4
	s_delay_alu instid0(VALU_DEP_1) | instskip(NEXT) | instid1(VALU_DEP_1)
	v_lshrrev_b16 v31, 8, v31
	v_sub_nc_u16 v32, v28, v31
	s_delay_alu instid0(VALU_DEP_1) | instskip(NEXT) | instid1(VALU_DEP_1)
	v_lshrrev_b16 v32, 1, v32
	v_and_b32_e32 v32, 0x7f, v32
	s_delay_alu instid0(VALU_DEP_1) | instskip(NEXT) | instid1(VALU_DEP_1)
	v_add_nc_u16 v31, v32, v31
	v_lshrrev_b16 v31, 4, v31
	s_delay_alu instid0(VALU_DEP_1) | instskip(NEXT) | instid1(VALU_DEP_1)
	v_and_b32_e32 v43, 15, v31
	v_mul_lo_u16 v31, v43, 21
	s_delay_alu instid0(VALU_DEP_1) | instskip(NEXT) | instid1(VALU_DEP_1)
	v_sub_nc_u16 v31, v28, v31
	v_and_b32_e32 v44, 0xff, v31
	s_delay_alu instid0(VALU_DEP_1)
	v_lshlrev_b32_e32 v35, 5, v44
	s_clause 0x1
	global_load_b128 v[31:34], v35, s[8:9] offset:224
	global_load_b128 v[35:38], v35, s[8:9] offset:240
	global_wb scope:SCOPE_SE
	s_wait_loadcnt_dscnt 0x0
	s_barrier_signal -1
	s_barrier_wait -1
	global_inv scope:SCOPE_SE
	v_mul_f64_e32 v[39:40], v[18:19], v[33:34]
	v_mul_f64_e32 v[41:42], v[22:23], v[37:38]
	;; [unrolled: 1-line block ×4, first 2 shown]
	s_delay_alu instid0(VALU_DEP_4) | instskip(NEXT) | instid1(VALU_DEP_4)
	v_fma_f64 v[16:17], v[16:17], v[31:32], v[39:40]
	v_fma_f64 v[20:21], v[20:21], v[35:36], v[41:42]
	s_delay_alu instid0(VALU_DEP_4) | instskip(NEXT) | instid1(VALU_DEP_4)
	v_fma_f64 v[18:19], v[18:19], v[31:32], -v[33:34]
	v_fma_f64 v[22:23], v[22:23], v[35:36], -v[37:38]
	s_delay_alu instid0(VALU_DEP_4) | instskip(NEXT) | instid1(VALU_DEP_4)
	v_add_f64_e32 v[35:36], v[12:13], v[16:17]
	v_add_f64_e32 v[31:32], v[16:17], v[20:21]
	v_add_f64_e64 v[39:40], v[16:17], -v[20:21]
	s_delay_alu instid0(VALU_DEP_4)
	v_add_f64_e32 v[33:34], v[18:19], v[22:23]
	v_add_f64_e64 v[37:38], v[18:19], -v[22:23]
	v_add_f64_e32 v[18:19], v[14:15], v[18:19]
	v_fma_f64 v[31:32], v[31:32], -0.5, v[12:13]
	v_add_f64_e32 v[12:13], v[35:36], v[20:21]
	v_fma_f64 v[33:34], v[33:34], -0.5, v[14:15]
	s_delay_alu instid0(VALU_DEP_4) | instskip(NEXT) | instid1(VALU_DEP_4)
	v_add_f64_e32 v[14:15], v[18:19], v[22:23]
	v_fma_f64 v[16:17], v[37:38], s[4:5], v[31:32]
	s_wait_alu 0xfffe
	v_fma_f64 v[20:21], v[37:38], s[10:11], v[31:32]
	s_delay_alu instid0(VALU_DEP_4) | instskip(SKIP_3) | instid1(VALU_DEP_2)
	v_fma_f64 v[18:19], v[39:40], s[10:11], v[33:34]
	v_fma_f64 v[22:23], v[39:40], s[4:5], v[33:34]
	v_and_b32_e32 v31, 0xffff, v43
	v_lshlrev_b32_e32 v32, 4, v44
	v_mul_u32_u24_e32 v31, 0x3f0, v31
	s_delay_alu instid0(VALU_DEP_1)
	v_add3_u32 v31, 0, v31, v32
	ds_store_b128 v31, v[12:15]
	ds_store_b128 v31, v[16:19] offset:336
	ds_store_b128 v31, v[20:23] offset:672
	s_and_saveexec_b32 s1, s0
	s_cbranch_execz .LBB0_23
; %bb.22:
	v_mul_lo_u16 v12, 0x87, v30
	s_delay_alu instid0(VALU_DEP_1) | instskip(NEXT) | instid1(VALU_DEP_1)
	v_lshrrev_b16 v12, 8, v12
	v_sub_nc_u16 v13, v29, v12
	s_delay_alu instid0(VALU_DEP_1) | instskip(NEXT) | instid1(VALU_DEP_1)
	v_lshrrev_b16 v13, 1, v13
	v_and_b32_e32 v13, 0x7f, v13
	s_delay_alu instid0(VALU_DEP_1) | instskip(NEXT) | instid1(VALU_DEP_1)
	v_add_nc_u16 v12, v13, v12
	v_lshrrev_b16 v12, 4, v12
	s_delay_alu instid0(VALU_DEP_1) | instskip(NEXT) | instid1(VALU_DEP_1)
	v_and_b32_e32 v30, 15, v12
	v_mul_lo_u16 v12, v30, 21
	s_delay_alu instid0(VALU_DEP_1) | instskip(NEXT) | instid1(VALU_DEP_1)
	v_sub_nc_u16 v12, v29, v12
	v_and_b32_e32 v29, 0xff, v12
	s_delay_alu instid0(VALU_DEP_1)
	v_lshlrev_b32_e32 v16, 5, v29
	s_clause 0x1
	global_load_b128 v[12:15], v16, s[8:9] offset:224
	global_load_b128 v[16:19], v16, s[8:9] offset:240
	s_wait_loadcnt 0x1
	v_mul_f64_e32 v[20:21], v[4:5], v[14:15]
	s_wait_loadcnt 0x0
	v_mul_f64_e32 v[22:23], v[8:9], v[18:19]
	v_mul_f64_e32 v[14:15], v[6:7], v[14:15]
	;; [unrolled: 1-line block ×3, first 2 shown]
	s_delay_alu instid0(VALU_DEP_4) | instskip(NEXT) | instid1(VALU_DEP_4)
	v_fma_f64 v[6:7], v[6:7], v[12:13], -v[20:21]
	v_fma_f64 v[10:11], v[10:11], v[16:17], -v[22:23]
	s_delay_alu instid0(VALU_DEP_4) | instskip(NEXT) | instid1(VALU_DEP_4)
	v_fma_f64 v[4:5], v[4:5], v[12:13], v[14:15]
	v_fma_f64 v[8:9], v[8:9], v[16:17], v[18:19]
	s_delay_alu instid0(VALU_DEP_4) | instskip(NEXT) | instid1(VALU_DEP_4)
	v_add_f64_e32 v[18:19], v[2:3], v[6:7]
	v_add_f64_e32 v[12:13], v[6:7], v[10:11]
	v_add_f64_e64 v[20:21], v[6:7], -v[10:11]
	s_delay_alu instid0(VALU_DEP_4)
	v_add_f64_e32 v[14:15], v[4:5], v[8:9]
	v_add_f64_e64 v[16:17], v[4:5], -v[8:9]
	v_add_f64_e32 v[4:5], v[0:1], v[4:5]
	v_fma_f64 v[12:13], v[12:13], -0.5, v[2:3]
	v_add_f64_e32 v[2:3], v[18:19], v[10:11]
	v_fma_f64 v[14:15], v[14:15], -0.5, v[0:1]
	s_delay_alu instid0(VALU_DEP_4) | instskip(NEXT) | instid1(VALU_DEP_4)
	v_add_f64_e32 v[0:1], v[4:5], v[8:9]
	v_fma_f64 v[10:11], v[16:17], s[10:11], v[12:13]
	v_fma_f64 v[6:7], v[16:17], s[4:5], v[12:13]
	s_delay_alu instid0(VALU_DEP_4) | instskip(SKIP_3) | instid1(VALU_DEP_2)
	v_fma_f64 v[8:9], v[20:21], s[4:5], v[14:15]
	v_fma_f64 v[4:5], v[20:21], s[10:11], v[14:15]
	v_and_b32_e32 v12, 0xffff, v30
	v_lshlrev_b32_e32 v13, 4, v29
	v_mul_u32_u24_e32 v12, 0x3f0, v12
	s_delay_alu instid0(VALU_DEP_1)
	v_add3_u32 v12, 0, v12, v13
	ds_store_b128 v12, v[0:3]
	ds_store_b128 v12, v[8:11] offset:336
	ds_store_b128 v12, v[4:7] offset:672
.LBB0_23:
	s_wait_alu 0xfffe
	s_or_b32 exec_lo, exec_lo, s1
	v_dual_mov_b32 v1, 0 :: v_dual_lshlrev_b32 v0, 2, v28
	global_wb scope:SCOPE_SE
	s_wait_dscnt 0x0
	s_barrier_signal -1
	s_barrier_wait -1
	global_inv scope:SCOPE_SE
	v_lshlrev_b64_e32 v[2:3], 4, v[0:1]
	s_mov_b32 s5, 0x3fee6f0e
	s_delay_alu instid0(VALU_DEP_1) | instskip(SKIP_1) | instid1(VALU_DEP_2)
	v_add_co_u32 v14, s0, s8, v2
	s_wait_alu 0xf1ff
	v_add_co_ci_u32_e64 v15, s0, s9, v3, s0
	s_mov_b32 s0, 0x134454ff
	s_mov_b32 s1, 0xbfee6f0e
	s_clause 0x3
	global_load_b128 v[2:5], v[14:15], off offset:896
	global_load_b128 v[6:9], v[14:15], off offset:912
	;; [unrolled: 1-line block ×4, first 2 shown]
	ds_load_b128 v[18:21], v53 offset:1008
	ds_load_b128 v[29:32], v53 offset:2016
	;; [unrolled: 1-line block ×4, first 2 shown]
	s_wait_alu 0xfffe
	s_mov_b32 s4, s0
	s_wait_loadcnt_dscnt 0x303
	v_mul_f64_e32 v[22:23], v[20:21], v[4:5]
	s_wait_loadcnt_dscnt 0x202
	v_mul_f64_e32 v[41:42], v[31:32], v[8:9]
	;; [unrolled: 2-line block ×4, first 2 shown]
	v_mul_f64_e32 v[8:9], v[29:30], v[8:9]
	v_mul_f64_e32 v[12:13], v[33:34], v[12:13]
	;; [unrolled: 1-line block ×4, first 2 shown]
	v_fma_f64 v[18:19], v[18:19], v[2:3], v[22:23]
	v_fma_f64 v[22:23], v[29:30], v[6:7], v[41:42]
	v_fma_f64 v[29:30], v[33:34], v[10:11], v[43:44]
	v_fma_f64 v[33:34], v[37:38], v[14:15], v[45:46]
	v_fma_f64 v[6:7], v[31:32], v[6:7], -v[8:9]
	v_fma_f64 v[8:9], v[35:36], v[10:11], -v[12:13]
	;; [unrolled: 1-line block ×4, first 2 shown]
	ds_load_b128 v[2:5], v53
	global_wb scope:SCOPE_SE
	s_wait_dscnt 0x0
	s_barrier_signal -1
	s_barrier_wait -1
	global_inv scope:SCOPE_SE
	v_add_f64_e32 v[35:36], v[2:3], v[18:19]
	v_add_f64_e32 v[12:13], v[22:23], v[29:30]
	;; [unrolled: 1-line block ×3, first 2 shown]
	v_add_f64_e64 v[43:44], v[18:19], -v[33:34]
	v_add_f64_e32 v[16:17], v[6:7], v[8:9]
	v_add_f64_e32 v[41:42], v[4:5], v[20:21]
	;; [unrolled: 1-line block ×3, first 2 shown]
	v_add_f64_e64 v[37:38], v[20:21], -v[10:11]
	v_add_f64_e64 v[39:40], v[6:7], -v[8:9]
	v_add_f64_e64 v[49:50], v[20:21], -v[6:7]
	v_add_f64_e64 v[20:21], v[6:7], -v[20:21]
	v_add_f64_e64 v[45:46], v[33:34], -v[29:30]
	v_add_f64_e64 v[51:52], v[10:11], -v[8:9]
	v_add_f64_e64 v[47:48], v[29:30], -v[33:34]
	v_add_f64_e64 v[54:55], v[8:9], -v[10:11]
	v_fma_f64 v[12:13], v[12:13], -0.5, v[2:3]
	v_fma_f64 v[2:3], v[14:15], -0.5, v[2:3]
	v_add_f64_e64 v[14:15], v[22:23], -v[29:30]
	v_fma_f64 v[16:17], v[16:17], -0.5, v[4:5]
	v_add_f64_e32 v[6:7], v[41:42], v[6:7]
	v_fma_f64 v[4:5], v[31:32], -0.5, v[4:5]
	v_add_f64_e64 v[31:32], v[18:19], -v[22:23]
	v_add_f64_e64 v[18:19], v[22:23], -v[18:19]
	v_add_f64_e32 v[22:23], v[35:36], v[22:23]
	v_add_f64_e32 v[20:21], v[20:21], v[54:55]
	v_fma_f64 v[35:36], v[37:38], s[0:1], v[12:13]
	s_wait_alu 0xfffe
	v_fma_f64 v[41:42], v[39:40], s[4:5], v[2:3]
	v_fma_f64 v[2:3], v[39:40], s[0:1], v[2:3]
	;; [unrolled: 1-line block ×7, first 2 shown]
	s_mov_b32 s0, 0x4755a5e
	s_mov_b32 s1, 0xbfe2cf23
	;; [unrolled: 1-line block ×3, first 2 shown]
	s_wait_alu 0xfffe
	s_mov_b32 s4, s0
	v_add_f64_e32 v[22:23], v[22:23], v[29:30]
	v_add_f64_e32 v[6:7], v[6:7], v[8:9]
	;; [unrolled: 1-line block ×5, first 2 shown]
	v_fma_f64 v[8:9], v[39:40], s[0:1], v[35:36]
	v_fma_f64 v[29:30], v[37:38], s[0:1], v[41:42]
	s_wait_alu 0xfffe
	v_fma_f64 v[35:36], v[37:38], s[4:5], v[2:3]
	v_fma_f64 v[37:38], v[14:15], s[4:5], v[56:57]
	;; [unrolled: 1-line block ×6, first 2 shown]
	s_mov_b32 s0, 0x372fe950
	s_mov_b32 s1, 0x3fd3c6ef
	v_add_f64_e32 v[2:3], v[22:23], v[33:34]
	v_add_f64_e32 v[4:5], v[6:7], v[10:11]
	s_wait_alu 0xfffe
	v_fma_f64 v[6:7], v[31:32], s[0:1], v[8:9]
	v_fma_f64 v[14:15], v[18:19], s[0:1], v[29:30]
	;; [unrolled: 1-line block ×8, first 2 shown]
	ds_store_b128 v53, v[2:5]
	ds_store_b128 v53, v[6:9] offset:1008
	ds_store_b128 v53, v[14:17] offset:2016
	;; [unrolled: 1-line block ×4, first 2 shown]
	global_wb scope:SCOPE_SE
	s_wait_dscnt 0x0
	s_barrier_signal -1
	s_barrier_wait -1
	global_inv scope:SCOPE_SE
	s_and_saveexec_b32 s0, vcc_lo
	s_cbranch_execz .LBB0_25
; %bb.24:
	v_mul_lo_u32 v0, s3, v26
	v_mul_lo_u32 v4, s2, v27
	v_mad_co_u64_u32 v[2:3], null, s2, v26, 0
	v_mov_b32_e32 v29, v1
	v_lshlrev_b64_e32 v[10:11], 4, v[24:25]
	v_lshl_add_u32 v18, v28, 4, 0
	s_delay_alu instid0(VALU_DEP_4) | instskip(SKIP_2) | instid1(VALU_DEP_3)
	v_add3_u32 v3, v3, v4, v0
	v_add_nc_u32_e32 v0, 63, v28
	v_lshlrev_b64_e32 v[12:13], 4, v[28:29]
	v_lshlrev_b64_e32 v[14:15], 4, v[2:3]
	s_delay_alu instid0(VALU_DEP_3)
	v_lshlrev_b64_e32 v[16:17], 4, v[0:1]
	v_add_nc_u32_e32 v0, 0x7e, v28
	ds_load_b128 v[2:5], v18
	ds_load_b128 v[6:9], v18 offset:1008
	v_add_co_u32 v14, vcc_lo, s6, v14
	s_wait_alu 0xfffd
	v_add_co_ci_u32_e32 v15, vcc_lo, s7, v15, vcc_lo
	v_lshlrev_b64_e32 v[22:23], 4, v[0:1]
	s_delay_alu instid0(VALU_DEP_3) | instskip(SKIP_1) | instid1(VALU_DEP_3)
	v_add_co_u32 v31, vcc_lo, v14, v10
	s_wait_alu 0xfffd
	v_add_co_ci_u32_e32 v32, vcc_lo, v15, v11, vcc_lo
	v_add_nc_u32_e32 v0, 0xbd, v28
	s_delay_alu instid0(VALU_DEP_3) | instskip(SKIP_1) | instid1(VALU_DEP_3)
	v_add_co_u32 v24, vcc_lo, v31, v12
	s_wait_alu 0xfffd
	v_add_co_ci_u32_e32 v25, vcc_lo, v32, v13, vcc_lo
	v_add_co_u32 v26, vcc_lo, v31, v16
	s_wait_alu 0xfffd
	v_add_co_ci_u32_e32 v27, vcc_lo, v32, v17, vcc_lo
	ds_load_b128 v[10:13], v18 offset:2016
	ds_load_b128 v[14:17], v18 offset:3024
	;; [unrolled: 1-line block ×3, first 2 shown]
	v_lshlrev_b64_e32 v[29:30], 4, v[0:1]
	v_add_nc_u32_e32 v0, 0xfc, v28
	v_add_co_u32 v22, vcc_lo, v31, v22
	s_wait_alu 0xfffd
	v_add_co_ci_u32_e32 v23, vcc_lo, v32, v23, vcc_lo
	s_delay_alu instid0(VALU_DEP_3) | instskip(SKIP_3) | instid1(VALU_DEP_3)
	v_lshlrev_b64_e32 v[0:1], 4, v[0:1]
	v_add_co_u32 v28, vcc_lo, v31, v29
	s_wait_alu 0xfffd
	v_add_co_ci_u32_e32 v29, vcc_lo, v32, v30, vcc_lo
	v_add_co_u32 v0, vcc_lo, v31, v0
	s_wait_alu 0xfffd
	v_add_co_ci_u32_e32 v1, vcc_lo, v32, v1, vcc_lo
	s_wait_dscnt 0x4
	global_store_b128 v[24:25], v[2:5], off
	s_wait_dscnt 0x3
	global_store_b128 v[26:27], v[6:9], off
	;; [unrolled: 2-line block ×5, first 2 shown]
.LBB0_25:
	s_nop 0
	s_sendmsg sendmsg(MSG_DEALLOC_VGPRS)
	s_endpgm
	.section	.rodata,"a",@progbits
	.p2align	6, 0x0
	.amdhsa_kernel fft_rtc_back_len315_factors_7_3_3_5_wgs_63_tpt_63_dp_op_CI_CI_unitstride_sbrr_dirReg
		.amdhsa_group_segment_fixed_size 0
		.amdhsa_private_segment_fixed_size 0
		.amdhsa_kernarg_size 104
		.amdhsa_user_sgpr_count 2
		.amdhsa_user_sgpr_dispatch_ptr 0
		.amdhsa_user_sgpr_queue_ptr 0
		.amdhsa_user_sgpr_kernarg_segment_ptr 1
		.amdhsa_user_sgpr_dispatch_id 0
		.amdhsa_user_sgpr_private_segment_size 0
		.amdhsa_wavefront_size32 1
		.amdhsa_uses_dynamic_stack 0
		.amdhsa_enable_private_segment 0
		.amdhsa_system_sgpr_workgroup_id_x 1
		.amdhsa_system_sgpr_workgroup_id_y 0
		.amdhsa_system_sgpr_workgroup_id_z 0
		.amdhsa_system_sgpr_workgroup_info 0
		.amdhsa_system_vgpr_workitem_id 0
		.amdhsa_next_free_vgpr 61
		.amdhsa_next_free_sgpr 39
		.amdhsa_reserve_vcc 1
		.amdhsa_float_round_mode_32 0
		.amdhsa_float_round_mode_16_64 0
		.amdhsa_float_denorm_mode_32 3
		.amdhsa_float_denorm_mode_16_64 3
		.amdhsa_fp16_overflow 0
		.amdhsa_workgroup_processor_mode 1
		.amdhsa_memory_ordered 1
		.amdhsa_forward_progress 0
		.amdhsa_round_robin_scheduling 0
		.amdhsa_exception_fp_ieee_invalid_op 0
		.amdhsa_exception_fp_denorm_src 0
		.amdhsa_exception_fp_ieee_div_zero 0
		.amdhsa_exception_fp_ieee_overflow 0
		.amdhsa_exception_fp_ieee_underflow 0
		.amdhsa_exception_fp_ieee_inexact 0
		.amdhsa_exception_int_div_zero 0
	.end_amdhsa_kernel
	.text
.Lfunc_end0:
	.size	fft_rtc_back_len315_factors_7_3_3_5_wgs_63_tpt_63_dp_op_CI_CI_unitstride_sbrr_dirReg, .Lfunc_end0-fft_rtc_back_len315_factors_7_3_3_5_wgs_63_tpt_63_dp_op_CI_CI_unitstride_sbrr_dirReg
                                        ; -- End function
	.section	.AMDGPU.csdata,"",@progbits
; Kernel info:
; codeLenInByte = 5504
; NumSgprs: 41
; NumVgprs: 61
; ScratchSize: 0
; MemoryBound: 0
; FloatMode: 240
; IeeeMode: 1
; LDSByteSize: 0 bytes/workgroup (compile time only)
; SGPRBlocks: 5
; VGPRBlocks: 7
; NumSGPRsForWavesPerEU: 41
; NumVGPRsForWavesPerEU: 61
; Occupancy: 16
; WaveLimiterHint : 1
; COMPUTE_PGM_RSRC2:SCRATCH_EN: 0
; COMPUTE_PGM_RSRC2:USER_SGPR: 2
; COMPUTE_PGM_RSRC2:TRAP_HANDLER: 0
; COMPUTE_PGM_RSRC2:TGID_X_EN: 1
; COMPUTE_PGM_RSRC2:TGID_Y_EN: 0
; COMPUTE_PGM_RSRC2:TGID_Z_EN: 0
; COMPUTE_PGM_RSRC2:TIDIG_COMP_CNT: 0
	.text
	.p2alignl 7, 3214868480
	.fill 96, 4, 3214868480
	.type	__hip_cuid_607a1a44837d3440,@object ; @__hip_cuid_607a1a44837d3440
	.section	.bss,"aw",@nobits
	.globl	__hip_cuid_607a1a44837d3440
__hip_cuid_607a1a44837d3440:
	.byte	0                               ; 0x0
	.size	__hip_cuid_607a1a44837d3440, 1

	.ident	"AMD clang version 19.0.0git (https://github.com/RadeonOpenCompute/llvm-project roc-6.4.0 25133 c7fe45cf4b819c5991fe208aaa96edf142730f1d)"
	.section	".note.GNU-stack","",@progbits
	.addrsig
	.addrsig_sym __hip_cuid_607a1a44837d3440
	.amdgpu_metadata
---
amdhsa.kernels:
  - .args:
      - .actual_access:  read_only
        .address_space:  global
        .offset:         0
        .size:           8
        .value_kind:     global_buffer
      - .offset:         8
        .size:           8
        .value_kind:     by_value
      - .actual_access:  read_only
        .address_space:  global
        .offset:         16
        .size:           8
        .value_kind:     global_buffer
      - .actual_access:  read_only
        .address_space:  global
        .offset:         24
        .size:           8
        .value_kind:     global_buffer
      - .actual_access:  read_only
        .address_space:  global
        .offset:         32
        .size:           8
        .value_kind:     global_buffer
      - .offset:         40
        .size:           8
        .value_kind:     by_value
      - .actual_access:  read_only
        .address_space:  global
        .offset:         48
        .size:           8
        .value_kind:     global_buffer
      - .actual_access:  read_only
        .address_space:  global
        .offset:         56
        .size:           8
        .value_kind:     global_buffer
      - .offset:         64
        .size:           4
        .value_kind:     by_value
      - .actual_access:  read_only
        .address_space:  global
        .offset:         72
        .size:           8
        .value_kind:     global_buffer
      - .actual_access:  read_only
        .address_space:  global
        .offset:         80
        .size:           8
        .value_kind:     global_buffer
      - .actual_access:  read_only
        .address_space:  global
        .offset:         88
        .size:           8
        .value_kind:     global_buffer
      - .actual_access:  write_only
        .address_space:  global
        .offset:         96
        .size:           8
        .value_kind:     global_buffer
    .group_segment_fixed_size: 0
    .kernarg_segment_align: 8
    .kernarg_segment_size: 104
    .language:       OpenCL C
    .language_version:
      - 2
      - 0
    .max_flat_workgroup_size: 63
    .name:           fft_rtc_back_len315_factors_7_3_3_5_wgs_63_tpt_63_dp_op_CI_CI_unitstride_sbrr_dirReg
    .private_segment_fixed_size: 0
    .sgpr_count:     41
    .sgpr_spill_count: 0
    .symbol:         fft_rtc_back_len315_factors_7_3_3_5_wgs_63_tpt_63_dp_op_CI_CI_unitstride_sbrr_dirReg.kd
    .uniform_work_group_size: 1
    .uses_dynamic_stack: false
    .vgpr_count:     61
    .vgpr_spill_count: 0
    .wavefront_size: 32
    .workgroup_processor_mode: 1
amdhsa.target:   amdgcn-amd-amdhsa--gfx1201
amdhsa.version:
  - 1
  - 2
...

	.end_amdgpu_metadata
